;; amdgpu-corpus repo=ROCm/rocFFT kind=compiled arch=gfx1100 opt=O3
	.text
	.amdgcn_target "amdgcn-amd-amdhsa--gfx1100"
	.amdhsa_code_object_version 6
	.protected	fft_rtc_fwd_len60_factors_3_4_5_wgs_190_tpt_5_halfLds_dim2_sp_ip_CI_sbcc_twdbase8_2step_dirReg_intrinsicReadWrite ; -- Begin function fft_rtc_fwd_len60_factors_3_4_5_wgs_190_tpt_5_halfLds_dim2_sp_ip_CI_sbcc_twdbase8_2step_dirReg_intrinsicReadWrite
	.globl	fft_rtc_fwd_len60_factors_3_4_5_wgs_190_tpt_5_halfLds_dim2_sp_ip_CI_sbcc_twdbase8_2step_dirReg_intrinsicReadWrite
	.p2align	8
	.type	fft_rtc_fwd_len60_factors_3_4_5_wgs_190_tpt_5_halfLds_dim2_sp_ip_CI_sbcc_twdbase8_2step_dirReg_intrinsicReadWrite,@function
fft_rtc_fwd_len60_factors_3_4_5_wgs_190_tpt_5_halfLds_dim2_sp_ip_CI_sbcc_twdbase8_2step_dirReg_intrinsicReadWrite: ; @fft_rtc_fwd_len60_factors_3_4_5_wgs_190_tpt_5_halfLds_dim2_sp_ip_CI_sbcc_twdbase8_2step_dirReg_intrinsicReadWrite
; %bb.0:
	s_load_b128 s[4:7], s[0:1], 0x10
	s_mov_b32 s10, s15
	s_waitcnt lgkmcnt(0)
	s_load_b64 s[2:3], s[4:5], 0x8
	s_waitcnt lgkmcnt(0)
	s_add_u32 s4, s2, -1
	s_addc_u32 s5, s3, -1
	s_add_u32 s8, 0, 0x286b7a80
	s_addc_u32 s9, 0, 23
	s_mul_hi_u32 s12, s8, 0xffffffda
	s_add_i32 s9, s9, 0x6bca198
	s_sub_i32 s12, s12, s8
	s_mul_i32 s14, s9, 0xffffffda
	s_mul_i32 s11, s8, 0xffffffda
	s_add_i32 s12, s12, s14
	s_mul_hi_u32 s13, s8, s11
	s_mul_i32 s16, s8, s12
	s_mul_hi_u32 s14, s8, s12
	s_mul_hi_u32 s15, s9, s11
	s_mul_i32 s11, s9, s11
	s_add_u32 s13, s13, s16
	s_addc_u32 s14, 0, s14
	s_mul_hi_u32 s17, s9, s12
	s_add_u32 s11, s13, s11
	s_mul_i32 s12, s9, s12
	s_addc_u32 s11, s14, s15
	s_addc_u32 s13, s17, 0
	s_add_u32 s11, s11, s12
	s_delay_alu instid0(SALU_CYCLE_1) | instskip(SKIP_3) | instid1(VALU_DEP_1)
	v_add_co_u32 v1, s8, s8, s11
	s_addc_u32 s11, 0, s13
	s_cmp_lg_u32 s8, 0
	s_addc_u32 s8, s9, s11
	v_readfirstlane_b32 s9, v1
	s_mul_i32 s12, s4, s8
	s_mul_hi_u32 s11, s4, s8
	s_mul_hi_u32 s13, s5, s8
	s_mul_i32 s8, s5, s8
	s_mul_hi_u32 s14, s4, s9
	s_mul_hi_u32 s15, s5, s9
	s_mul_i32 s9, s5, s9
	s_add_u32 s12, s14, s12
	s_addc_u32 s11, 0, s11
	s_add_u32 s9, s12, s9
	s_addc_u32 s9, s11, s15
	s_addc_u32 s11, s13, 0
	s_add_u32 s12, s9, s8
	s_addc_u32 s13, 0, s11
	s_mul_i32 s9, s12, 38
	s_add_u32 s8, s12, 1
	v_sub_co_u32 v1, s4, s4, s9
	s_mul_hi_u32 s9, s12, 38
	s_addc_u32 s11, s13, 0
	s_mul_i32 s14, s13, 38
	s_delay_alu instid0(VALU_DEP_1)
	v_sub_co_u32 v2, s15, v1, 38
	s_add_u32 s16, s12, 2
	s_addc_u32 s17, s13, 0
	s_add_i32 s9, s9, s14
	s_cmp_lg_u32 s4, 0
	v_readfirstlane_b32 s4, v2
	s_subb_u32 s9, s5, s9
	s_cmp_lg_u32 s15, 0
	s_subb_u32 s5, s9, 0
	s_delay_alu instid0(VALU_DEP_1) | instskip(SKIP_4) | instid1(SALU_CYCLE_1)
	s_cmp_gt_u32 s4, 37
	s_cselect_b32 s4, -1, 0
	s_cmp_eq_u32 s5, 0
	v_readfirstlane_b32 s5, v1
	s_cselect_b32 s4, s4, -1
	s_cmp_lg_u32 s4, 0
	s_cselect_b32 s14, s16, s8
	s_cselect_b32 s15, s17, s11
	s_cmp_gt_u32 s5, 37
	s_load_b64 s[4:5], s[0:1], 0x50
	s_cselect_b32 s11, -1, 0
	s_cmp_eq_u32 s9, 0
	s_load_b64 s[8:9], s[6:7], 0x0
	s_waitcnt lgkmcnt(0)
	s_cselect_b32 s9, s11, -1
	s_mov_b32 s11, 0
	s_cmp_lg_u32 s9, 0
	s_cselect_b32 s9, s14, s12
	s_cselect_b32 s13, s15, s13
	s_add_u32 s12, s9, 1
	s_addc_u32 s13, s13, 0
	s_mov_b64 s[14:15], 0
	v_cmp_lt_u64_e64 s9, s[10:11], s[12:13]
	s_delay_alu instid0(VALU_DEP_1)
	s_and_b32 vcc_lo, exec_lo, s9
	s_cbranch_vccnz .LBB0_2
; %bb.1:
	v_cvt_f32_u32_e32 v1, s12
	s_sub_i32 s11, 0, s12
	s_delay_alu instid0(VALU_DEP_1) | instskip(SKIP_2) | instid1(VALU_DEP_1)
	v_rcp_iflag_f32_e32 v1, v1
	s_waitcnt_depctr 0xfff
	v_mul_f32_e32 v1, 0x4f7ffffe, v1
	v_cvt_u32_f32_e32 v1, v1
	s_delay_alu instid0(VALU_DEP_1) | instskip(NEXT) | instid1(VALU_DEP_1)
	v_readfirstlane_b32 s9, v1
	s_mul_i32 s11, s11, s9
	s_delay_alu instid0(SALU_CYCLE_1) | instskip(NEXT) | instid1(SALU_CYCLE_1)
	s_mul_hi_u32 s11, s9, s11
	s_add_i32 s9, s9, s11
	s_delay_alu instid0(SALU_CYCLE_1) | instskip(NEXT) | instid1(SALU_CYCLE_1)
	s_mul_hi_u32 s9, s10, s9
	s_mul_i32 s11, s9, s12
	s_add_i32 s14, s9, 1
	s_sub_i32 s11, s10, s11
	s_delay_alu instid0(SALU_CYCLE_1)
	s_sub_i32 s15, s11, s12
	s_cmp_ge_u32 s11, s12
	s_cselect_b32 s9, s14, s9
	s_cselect_b32 s11, s15, s11
	s_add_i32 s14, s9, 1
	s_cmp_ge_u32 s11, s12
	s_cselect_b32 s14, s14, s9
.LBB0_2:
	v_mul_u32_u24_e32 v1, 0x6bd, v0
	s_load_b128 s[16:19], s[6:7], 0x8
	s_mul_i32 s6, s14, s13
	s_mul_hi_u32 s7, s14, s12
	s_mul_i32 s9, s14, s12
	v_lshrrev_b32_e32 v61, 16, v1
	s_add_i32 s7, s7, s6
	s_sub_u32 s6, s10, s9
	s_subb_u32 s7, 0, s7
	s_mul_hi_u32 s9, s6, 38
	v_mul_lo_u16 v1, v61, 38
	s_mul_i32 s11, s6, 38
	s_mul_i32 s7, s7, 38
	v_mov_b32_e32 v8, 0
	s_add_i32 s9, s9, s7
	v_sub_nc_u16 v1, v0, v1
	s_delay_alu instid0(VALU_DEP_1) | instskip(SKIP_3) | instid1(SALU_CYCLE_1)
	v_and_b32_e32 v26, 0xffff, v1
	s_waitcnt lgkmcnt(0)
	s_mul_i32 s6, s11, s16
	s_mul_i32 s10, s18, s14
	s_add_u32 s10, s10, s6
	v_mad_u64_u32 v[43:44], null, s16, v26, 0
	s_add_u32 s6, s11, 38
	s_delay_alu instid0(VALU_DEP_1) | instskip(SKIP_1) | instid1(VALU_DEP_1)
	v_mov_b32_e32 v1, v44
	v_add_co_u32 v13, s7, s11, v26
	v_add_co_ci_u32_e64 v14, null, s9, 0, s7
	s_addc_u32 s7, s9, 0
	s_delay_alu instid0(VALU_DEP_3) | instskip(SKIP_1) | instid1(VALU_DEP_3)
	v_mad_u64_u32 v[2:3], null, s17, v26, v[1:2]
	v_cmp_le_u64_e64 s9, s[6:7], s[2:3]
	v_cmp_gt_u64_e32 vcc_lo, s[2:3], v[13:14]
	v_dual_mov_b32 v2, 0 :: v_dual_mov_b32 v1, 0
	s_delay_alu instid0(VALU_DEP_3) | instskip(NEXT) | instid1(SALU_CYCLE_1)
	s_or_b32 s3, s9, vcc_lo
	s_and_saveexec_b32 s6, s3
	s_cbranch_execz .LBB0_4
; %bb.3:
	v_mul_lo_u32 v1, s8, v61
	v_mov_b32_e32 v2, 0
	s_delay_alu instid0(VALU_DEP_2) | instskip(NEXT) | instid1(VALU_DEP_1)
	v_add3_u32 v1, s10, v43, v1
	v_lshlrev_b64 v[1:2], 3, v[1:2]
	s_delay_alu instid0(VALU_DEP_1) | instskip(NEXT) | instid1(VALU_DEP_1)
	v_add_co_u32 v1, s2, s4, v1
	v_add_co_ci_u32_e64 v2, s2, s5, v2, s2
	global_load_b64 v[1:2], v[1:2], off
.LBB0_4:
	s_or_b32 exec_lo, exec_lo, s6
	v_mov_b32_e32 v7, 0
	s_and_saveexec_b32 s6, s3
	s_cbranch_execz .LBB0_6
; %bb.5:
	v_dual_mov_b32 v4, 0 :: v_dual_add_nc_u32 v3, 20, v61
	s_delay_alu instid0(VALU_DEP_1) | instskip(NEXT) | instid1(VALU_DEP_1)
	v_mul_lo_u32 v3, s8, v3
	v_add3_u32 v3, s10, v43, v3
	s_delay_alu instid0(VALU_DEP_1) | instskip(NEXT) | instid1(VALU_DEP_1)
	v_lshlrev_b64 v[3:4], 3, v[3:4]
	v_add_co_u32 v3, s2, s4, v3
	s_delay_alu instid0(VALU_DEP_1)
	v_add_co_ci_u32_e64 v4, s2, s5, v4, s2
	global_load_b64 v[7:8], v[3:4], off
.LBB0_6:
	s_or_b32 exec_lo, exec_lo, s6
	v_dual_mov_b32 v4, 0 :: v_dual_mov_b32 v11, 0
	v_mov_b32_e32 v12, 0
	s_and_saveexec_b32 s6, s3
	s_cbranch_execz .LBB0_8
; %bb.7:
	v_or_b32_e32 v3, 40, v61
	v_mov_b32_e32 v6, 0
	s_delay_alu instid0(VALU_DEP_2) | instskip(NEXT) | instid1(VALU_DEP_1)
	v_mul_lo_u32 v3, s8, v3
	v_add3_u32 v5, s10, v43, v3
	s_delay_alu instid0(VALU_DEP_1) | instskip(NEXT) | instid1(VALU_DEP_1)
	v_lshlrev_b64 v[5:6], 3, v[5:6]
	v_add_co_u32 v5, s2, s4, v5
	s_delay_alu instid0(VALU_DEP_1)
	v_add_co_ci_u32_e64 v6, s2, s5, v6, s2
	global_load_b64 v[11:12], v[5:6], off
.LBB0_8:
	s_or_b32 exec_lo, exec_lo, s6
	v_add_nc_u32_e32 v53, 5, v61
	v_mov_b32_e32 v3, 0
	s_and_saveexec_b32 s6, s3
	s_cbranch_execz .LBB0_10
; %bb.9:
	s_delay_alu instid0(VALU_DEP_2) | instskip(SKIP_1) | instid1(VALU_DEP_2)
	v_mul_lo_u32 v3, s8, v53
	v_mov_b32_e32 v4, 0
	v_add3_u32 v3, s10, v43, v3
	s_delay_alu instid0(VALU_DEP_1) | instskip(NEXT) | instid1(VALU_DEP_1)
	v_lshlrev_b64 v[3:4], 3, v[3:4]
	v_add_co_u32 v3, s2, s4, v3
	s_delay_alu instid0(VALU_DEP_1)
	v_add_co_ci_u32_e64 v4, s2, s5, v4, s2
	global_load_b64 v[3:4], v[3:4], off
.LBB0_10:
	s_or_b32 exec_lo, exec_lo, s6
	v_dual_mov_b32 v15, 0 :: v_dual_mov_b32 v16, 0
	v_mov_b32_e32 v17, 0
	s_and_saveexec_b32 s6, s3
	s_cbranch_execz .LBB0_12
; %bb.11:
	v_dual_mov_b32 v6, 0 :: v_dual_add_nc_u32 v5, 25, v61
	s_delay_alu instid0(VALU_DEP_1) | instskip(NEXT) | instid1(VALU_DEP_1)
	v_mul_lo_u32 v5, s8, v5
	v_add3_u32 v5, s10, v43, v5
	s_delay_alu instid0(VALU_DEP_1) | instskip(NEXT) | instid1(VALU_DEP_1)
	v_lshlrev_b64 v[5:6], 3, v[5:6]
	v_add_co_u32 v5, s2, s4, v5
	s_delay_alu instid0(VALU_DEP_1)
	v_add_co_ci_u32_e64 v6, s2, s5, v6, s2
	global_load_b64 v[16:17], v[5:6], off
.LBB0_12:
	s_or_b32 exec_lo, exec_lo, s6
	v_mov_b32_e32 v14, 0
	s_and_saveexec_b32 s6, s3
	s_cbranch_execz .LBB0_14
; %bb.13:
	v_dual_mov_b32 v6, 0 :: v_dual_add_nc_u32 v5, 45, v61
	s_delay_alu instid0(VALU_DEP_1) | instskip(NEXT) | instid1(VALU_DEP_1)
	v_mul_lo_u32 v5, s8, v5
	v_add3_u32 v5, s10, v43, v5
	s_delay_alu instid0(VALU_DEP_1) | instskip(NEXT) | instid1(VALU_DEP_1)
	v_lshlrev_b64 v[5:6], 3, v[5:6]
	v_add_co_u32 v5, s2, s4, v5
	s_delay_alu instid0(VALU_DEP_1)
	v_add_co_ci_u32_e64 v6, s2, s5, v6, s2
	global_load_b64 v[14:15], v[5:6], off
.LBB0_14:
	s_or_b32 exec_lo, exec_lo, s6
	v_dual_mov_b32 v19, 0 :: v_dual_add_nc_u32 v52, 10, v61
	v_dual_mov_b32 v6, 0 :: v_dual_mov_b32 v5, 0
	s_and_saveexec_b32 s6, s3
	s_cbranch_execz .LBB0_16
; %bb.15:
	s_delay_alu instid0(VALU_DEP_2) | instskip(SKIP_1) | instid1(VALU_DEP_2)
	v_mul_lo_u32 v5, s8, v52
	v_mov_b32_e32 v6, 0
	v_add3_u32 v5, s10, v43, v5
	s_delay_alu instid0(VALU_DEP_1) | instskip(NEXT) | instid1(VALU_DEP_1)
	v_lshlrev_b64 v[5:6], 3, v[5:6]
	v_add_co_u32 v5, s2, s4, v5
	s_delay_alu instid0(VALU_DEP_1)
	v_add_co_ci_u32_e64 v6, s2, s5, v6, s2
	global_load_b64 v[5:6], v[5:6], off
.LBB0_16:
	s_or_b32 exec_lo, exec_lo, s6
	v_mov_b32_e32 v18, 0
	s_and_saveexec_b32 s6, s3
	s_cbranch_execz .LBB0_18
; %bb.17:
	v_dual_mov_b32 v10, 0 :: v_dual_add_nc_u32 v9, 30, v61
	s_delay_alu instid0(VALU_DEP_1) | instskip(NEXT) | instid1(VALU_DEP_1)
	v_mul_lo_u32 v9, s8, v9
	v_add3_u32 v9, s10, v43, v9
	s_delay_alu instid0(VALU_DEP_1) | instskip(NEXT) | instid1(VALU_DEP_1)
	v_lshlrev_b64 v[9:10], 3, v[9:10]
	v_add_co_u32 v9, s2, s4, v9
	s_delay_alu instid0(VALU_DEP_1)
	v_add_co_ci_u32_e64 v10, s2, s5, v10, s2
	global_load_b64 v[18:19], v[9:10], off
.LBB0_18:
	s_or_b32 exec_lo, exec_lo, s6
	v_dual_mov_b32 v10, 0 :: v_dual_mov_b32 v21, 0
	v_mov_b32_e32 v20, 0
	s_and_saveexec_b32 s6, s3
	s_cbranch_execz .LBB0_20
; %bb.19:
	v_add_nc_u32_e32 v9, 50, v61
	v_mov_b32_e32 v21, 0
	s_delay_alu instid0(VALU_DEP_2) | instskip(NEXT) | instid1(VALU_DEP_1)
	v_mul_lo_u32 v9, s8, v9
	v_add3_u32 v20, s10, v43, v9
	s_delay_alu instid0(VALU_DEP_1) | instskip(NEXT) | instid1(VALU_DEP_1)
	v_lshlrev_b64 v[20:21], 3, v[20:21]
	v_add_co_u32 v20, s2, s4, v20
	s_delay_alu instid0(VALU_DEP_1)
	v_add_co_ci_u32_e64 v21, s2, s5, v21, s2
	global_load_b64 v[20:21], v[20:21], off
.LBB0_20:
	s_or_b32 exec_lo, exec_lo, s6
	v_add_nc_u32_e32 v27, 15, v61
	v_mov_b32_e32 v9, 0
	s_and_saveexec_b32 s6, s3
	s_cbranch_execz .LBB0_22
; %bb.21:
	s_delay_alu instid0(VALU_DEP_2) | instskip(SKIP_1) | instid1(VALU_DEP_2)
	v_mul_lo_u32 v9, s8, v27
	v_mov_b32_e32 v10, 0
	v_add3_u32 v9, s10, v43, v9
	s_delay_alu instid0(VALU_DEP_1) | instskip(NEXT) | instid1(VALU_DEP_1)
	v_lshlrev_b64 v[9:10], 3, v[9:10]
	v_add_co_u32 v9, s2, s4, v9
	s_delay_alu instid0(VALU_DEP_1)
	v_add_co_ci_u32_e64 v10, s2, s5, v10, s2
	global_load_b64 v[9:10], v[9:10], off
.LBB0_22:
	s_or_b32 exec_lo, exec_lo, s6
	s_load_b64 s[6:7], s[0:1], 0x0
	v_dual_mov_b32 v23, 0 :: v_dual_mov_b32 v24, 0
	v_mov_b32_e32 v25, 0
	s_and_saveexec_b32 s11, s3
	s_cbranch_execz .LBB0_24
; %bb.23:
	v_dual_mov_b32 v25, 0 :: v_dual_add_nc_u32 v22, 35, v61
	s_delay_alu instid0(VALU_DEP_1) | instskip(NEXT) | instid1(VALU_DEP_1)
	v_mul_lo_u32 v22, s8, v22
	v_add3_u32 v24, s10, v43, v22
	s_delay_alu instid0(VALU_DEP_1) | instskip(NEXT) | instid1(VALU_DEP_1)
	v_lshlrev_b64 v[24:25], 3, v[24:25]
	v_add_co_u32 v24, s2, s4, v24
	s_delay_alu instid0(VALU_DEP_1)
	v_add_co_ci_u32_e64 v25, s2, s5, v25, s2
	global_load_b64 v[24:25], v[24:25], off
.LBB0_24:
	s_or_b32 exec_lo, exec_lo, s11
	v_mov_b32_e32 v22, 0
	s_and_saveexec_b32 s11, s3
	s_cbranch_execz .LBB0_26
; %bb.25:
	v_dual_mov_b32 v23, 0 :: v_dual_add_nc_u32 v22, 55, v61
	s_delay_alu instid0(VALU_DEP_1) | instskip(NEXT) | instid1(VALU_DEP_1)
	v_mul_lo_u32 v22, s8, v22
	v_add3_u32 v22, s10, v43, v22
	s_delay_alu instid0(VALU_DEP_1) | instskip(NEXT) | instid1(VALU_DEP_1)
	v_lshlrev_b64 v[22:23], 3, v[22:23]
	v_add_co_u32 v22, s2, s4, v22
	s_delay_alu instid0(VALU_DEP_1)
	v_add_co_ci_u32_e64 v23, s2, s5, v23, s2
	global_load_b64 v[22:23], v[22:23], off
.LBB0_26:
	s_or_b32 exec_lo, exec_lo, s11
	s_waitcnt vmcnt(0)
	v_dual_add_f32 v28, v7, v11 :: v_dual_add_f32 v31, v8, v12
	v_dual_add_f32 v29, v1, v7 :: v_dual_sub_f32 v30, v8, v12
	v_add_f32_e32 v8, v2, v8
	s_delay_alu instid0(VALU_DEP_3) | instskip(NEXT) | instid1(VALU_DEP_3)
	v_dual_fmac_f32 v1, -0.5, v28 :: v_dual_add_f32 v28, v16, v14
	v_add_f32_e32 v29, v29, v11
	v_fmac_f32_e32 v2, -0.5, v31
	v_cmp_gt_u32_e64 s2, 0x4c, v0
	s_delay_alu instid0(VALU_DEP_4)
	v_fmamk_f32 v31, v30, 0x3f5db3d7, v1
	v_dual_fmac_f32 v1, 0xbf5db3d7, v30 :: v_dual_add_f32 v8, v8, v12
	v_sub_f32_e32 v12, v17, v15
	v_sub_f32_e32 v7, v7, v11
	v_add_f32_e32 v11, v3, v16
	v_dual_fmac_f32 v3, -0.5, v28 :: v_dual_lshlrev_b32 v44, 2, v26
	s_delay_alu instid0(VALU_DEP_1) | instskip(NEXT) | instid1(VALU_DEP_4)
	v_fmamk_f32 v30, v12, 0x3f5db3d7, v3
	v_fmamk_f32 v28, v7, 0xbf5db3d7, v2
	s_delay_alu instid0(VALU_DEP_4) | instskip(SKIP_3) | instid1(VALU_DEP_3)
	v_dual_fmac_f32 v2, 0x3f5db3d7, v7 :: v_dual_add_f32 v7, v11, v14
	v_add_f32_e32 v11, v17, v15
	v_fmac_f32_e32 v3, 0xbf5db3d7, v12
	v_dual_add_f32 v12, v18, v20 :: v_dual_add_f32 v17, v4, v17
	v_dual_fmac_f32 v4, -0.5, v11 :: v_dual_sub_f32 v11, v16, v14
	s_delay_alu instid0(VALU_DEP_2) | instskip(NEXT) | instid1(VALU_DEP_3)
	v_dual_add_f32 v14, v5, v18 :: v_dual_fmac_f32 v5, -0.5, v12
	v_add_f32_e32 v32, v17, v15
	v_sub_f32_e32 v12, v19, v21
	v_add_f32_e32 v15, v19, v21
	v_dual_fmamk_f32 v33, v11, 0xbf5db3d7, v4 :: v_dual_add_f32 v16, v6, v19
	v_dual_fmac_f32 v4, 0x3f5db3d7, v11 :: v_dual_add_f32 v11, v14, v20
	s_delay_alu instid0(VALU_DEP_4) | instskip(NEXT) | instid1(VALU_DEP_4)
	v_fmamk_f32 v14, v12, 0x3f5db3d7, v5
	v_dual_fmac_f32 v6, -0.5, v15 :: v_dual_sub_f32 v15, v18, v20
	s_delay_alu instid0(VALU_DEP_4) | instskip(SKIP_1) | instid1(VALU_DEP_3)
	v_dual_fmac_f32 v5, 0xbf5db3d7, v12 :: v_dual_add_f32 v18, v16, v21
	v_dual_add_f32 v12, v9, v24 :: v_dual_add_f32 v17, v24, v22
	v_fmamk_f32 v19, v15, 0xbf5db3d7, v6
	v_fmac_f32_e32 v6, 0x3f5db3d7, v15
	v_add_f32_e32 v15, v25, v23
	s_delay_alu instid0(VALU_DEP_4) | instskip(SKIP_4) | instid1(VALU_DEP_4)
	v_dual_sub_f32 v16, v25, v23 :: v_dual_fmac_f32 v9, -0.5, v17
	v_mul_u32_u24_e32 v17, 0x1c8, v61
	v_add_f32_e32 v20, v10, v25
	v_add_f32_e32 v12, v12, v22
	v_dual_fmac_f32 v10, -0.5, v15 :: v_dual_sub_f32 v15, v24, v22
	v_add3_u32 v25, 0, v17, v44
	v_fmamk_f32 v21, v16, 0x3f5db3d7, v9
	v_dual_fmac_f32 v9, 0xbf5db3d7, v16 :: v_dual_add_f32 v20, v20, v23
	s_delay_alu instid0(VALU_DEP_3)
	v_add_nc_u32_e32 v34, 0x800, v25
	ds_store_2addr_b32 v25, v29, v31 offset1:38
	v_add_nc_u32_e32 v29, 0x1000, v25
	v_add_nc_u32_e32 v31, 0x1800, v25
	v_mad_i32_i24 v22, 0xfffffed0, v61, v25
	ds_store_2addr_b32 v34, v7, v30 offset0:58 offset1:96
	v_add_nc_u32_e32 v23, 0x8e8, v25
	ds_store_2addr_b32 v29, v11, v14 offset0:116 offset1:154
	v_add_nc_u32_e32 v11, 0x1ab8, v25
	ds_store_2addr_b32 v31, v12, v21 offset0:174 offset1:212
	ds_store_b32 v25, v1 offset:304
	ds_store_b32 v25, v3 offset:2584
	;; [unrolled: 1-line block ×4, first 2 shown]
	v_mul_lo_u16 v1, 0x56, v61
	v_add_nc_u32_e32 v21, 0x1100, v22
	v_mad_i32_i24 v45, 0xfffffed0, v27, v11
	v_add_nc_u32_e32 v30, 0x1700, v22
	s_waitcnt lgkmcnt(0)
	v_lshrrev_b16 v27, 8, v1
	v_mul_lo_u16 v1, 0x56, v53
	s_barrier
	buffer_gl0_inv
	v_add_nc_u32_e32 v51, 0x1d00, v22
	v_mul_lo_u16 v3, v27, 3
	v_lshrrev_b16 v49, 8, v1
	v_mul_lo_u16 v1, 0x56, v52
	v_mad_i32_i24 v23, 0xfffffed0, v53, v23
	v_add_nc_u32_e32 v46, 0xb00, v22
	v_sub_nc_u16 v50, v61, v3
	v_mul_lo_u16 v3, v49, 3
	v_lshrrev_b16 v54, 8, v1
	s_delay_alu instid0(VALU_DEP_3) | instskip(NEXT) | instid1(VALU_DEP_3)
	v_mul_lo_u16 v1, v50, 3
	v_sub_nc_u16 v3, v53, v3
	s_delay_alu instid0(VALU_DEP_3) | instskip(NEXT) | instid1(VALU_DEP_3)
	v_mul_lo_u16 v5, v54, 3
	v_and_b32_e32 v1, 0xff, v1
	v_fmamk_f32 v26, v15, 0xbf5db3d7, v10
	v_fmac_f32_e32 v10, 0x3f5db3d7, v15
	ds_load_2addr_b32 v[16:17], v21 offset0:52 offset1:242
	ds_load_2addr_b32 v[14:15], v30 offset0:48 offset1:238
	v_add_nc_u32_e32 v7, 0x11d0, v25
	ds_load_b32 v56, v22
	ds_load_b32 v57, v23
	ds_load_2addr_b32 v[35:36], v46 offset0:56 offset1:246
	ds_load_2addr_b32 v[37:38], v51 offset0:44 offset1:234
	v_lshlrev_b32_e32 v1, 3, v1
	v_mad_i32_i24 v24, 0xfffffed0, v52, v7
	ds_load_b32 v58, v45
	ds_load_b32 v59, v24
	s_waitcnt lgkmcnt(0)
	s_barrier
	buffer_gl0_inv
	ds_store_2addr_b32 v25, v8, v28 offset1:38
	ds_store_2addr_b32 v34, v32, v33 offset0:58 offset1:96
	ds_store_2addr_b32 v29, v18, v19 offset0:116 offset1:154
	;; [unrolled: 1-line block ×3, first 2 shown]
	v_and_b32_e32 v29, 0xff, v3
	v_sub_nc_u16 v3, v52, v5
	ds_store_b32 v25, v2 offset:304
	ds_store_b32 v25, v4 offset:2584
	;; [unrolled: 1-line block ×4, first 2 shown]
	s_waitcnt lgkmcnt(0)
	s_barrier
	v_mul_u32_u24_e32 v2, 3, v29
	v_and_b32_e32 v31, 0xff, v3
	buffer_gl0_inv
	global_load_b128 v[9:12], v1, s[6:7]
	v_mul_lo_u16 v20, v27, 12
	v_lshlrev_b32_e32 v2, 3, v2
	v_mul_u32_u24_e32 v3, 3, v31
	s_clause 0x1
	global_load_b64 v[39:40], v1, s[6:7] offset:16
	global_load_b128 v[5:8], v2, s[6:7]
	v_lshlrev_b32_e32 v18, 3, v3
	s_clause 0x2
	global_load_b64 v[41:42], v2, s[6:7] offset:16
	global_load_b128 v[1:4], v18, s[6:7]
	global_load_b64 v[47:48], v18, s[6:7] offset:16
	ds_load_b32 v60, v45
	v_and_b32_e32 v19, 0xffff, v54
	v_and_b32_e32 v18, 0xffff, v49
	v_or_b32_e32 v45, v20, v50
	s_delay_alu instid0(VALU_DEP_3) | instskip(NEXT) | instid1(VALU_DEP_3)
	v_mul_u32_u24_e32 v49, 12, v19
	v_mul_u32_u24_e32 v33, 12, v18
	ds_load_2addr_b32 v[20:21], v21 offset0:52 offset1:242
	ds_load_2addr_b32 v[18:19], v30 offset0:48 offset1:238
	ds_load_b32 v34, v22
	ds_load_b32 v32, v23
	v_or_b32_e32 v31, v49, v31
	ds_load_2addr_b32 v[49:50], v46 offset0:56 offset1:246
	ds_load_2addr_b32 v[54:55], v51 offset0:44 offset1:234
	ds_load_b32 v46, v24
	s_waitcnt vmcnt(0) lgkmcnt(0)
	s_barrier
	buffer_gl0_inv
	v_mul_f32_e32 v51, v60, v10
	v_mul_f32_e32 v10, v58, v10
	;; [unrolled: 1-line block ×6, first 2 shown]
	v_dual_mul_f32 v6, v35, v6 :: v_dual_mul_f32 v65, v21, v8
	v_mul_f32_e32 v66, v54, v42
	v_dual_mul_f32 v42, v37, v42 :: v_dual_mul_f32 v69, v55, v48
	v_dual_fmac_f32 v40, v19, v39 :: v_dual_add_nc_u32 v25, 0x700, v22
	s_delay_alu instid0(VALU_DEP_4)
	v_dual_fmac_f32 v6, v49, v5 :: v_dual_add_nc_u32 v27, 0x1500, v22
	v_mul_f32_e32 v48, v38, v48
	v_fmac_f32_e32 v10, v60, v9
	v_fma_f32 v35, v35, v5, -v64
	v_fma_f32 v5, v17, v7, -v65
	;; [unrolled: 1-line block ×4, first 2 shown]
	v_fmac_f32_e32 v42, v54, v41
	v_and_b32_e32 v30, 0xff, v45
	v_add_nc_u32_e32 v26, 0xe00, v22
	v_add_nc_u32_e32 v28, 0x1c00, v22
	v_dual_fmac_f32 v48, v55, v47 :: v_dual_sub_f32 v47, v10, v40
	v_dual_sub_f32 v40, v57, v5 :: v_dual_sub_f32 v5, v35, v19
	v_sub_f32_e32 v19, v6, v42
	v_mul_u32_u24_e32 v30, 0x98, v30
	v_or_b32_e32 v29, v33, v29
	v_mul_u32_u24_e32 v33, 0x98, v31
	v_mul_f32_e32 v67, v50, v2
	v_mul_f32_e32 v2, v36, v2
	v_add3_u32 v31, 0, v30, v44
	v_fma_f32 v51, v58, v9, -v51
	v_fma_f32 v9, v16, v11, -v62
	;; [unrolled: 1-line block ×3, first 2 shown]
	v_mul_u32_u24_e32 v29, 0x98, v29
	v_dual_mul_f32 v68, v18, v4 :: v_dual_add_nc_u32 v45, 0x200, v31
	v_fma_f32 v36, v36, v1, -v67
	v_dual_fmac_f32 v2, v50, v1 :: v_dual_sub_f32 v49, v40, v19
	v_sub_f32_e32 v39, v56, v9
	v_sub_f32_e32 v1, v51, v15
	v_add3_u32 v30, 0, v29, v44
	v_fma_f32 v37, v14, v3, -v68
	v_sub_f32_e32 v9, v36, v38
	v_fma_f32 v38, v56, 2.0, -v39
	v_fma_f32 v41, v51, 2.0, -v1
	v_add3_u32 v29, 0, v33, v44
	v_dual_sub_f32 v37, v59, v37 :: v_dual_add_nc_u32 v44, 0x200, v30
	v_fma_f32 v35, v35, 2.0, -v5
	s_delay_alu instid0(VALU_DEP_4)
	v_sub_f32_e32 v41, v38, v41
	v_sub_f32_e32 v15, v2, v48
	v_fma_f32 v48, v57, 2.0, -v40
	v_fma_f32 v50, v59, 2.0, -v37
	;; [unrolled: 1-line block ×3, first 2 shown]
	v_dual_sub_f32 v42, v39, v47 :: v_dual_add_nc_u32 v33, 0x200, v29
	s_delay_alu instid0(VALU_DEP_4) | instskip(NEXT) | instid1(VALU_DEP_3)
	v_sub_f32_e32 v35, v48, v35
	v_dual_sub_f32 v57, v37, v15 :: v_dual_sub_f32 v54, v50, v36
	v_fma_f32 v38, v38, 2.0, -v41
	s_delay_alu instid0(VALU_DEP_4)
	v_fma_f32 v39, v39, 2.0, -v42
	v_fma_f32 v36, v40, 2.0, -v49
	;; [unrolled: 1-line block ×5, first 2 shown]
	ds_store_2addr_b32 v45, v41, v42 offset0:100 offset1:214
	ds_store_2addr_b32 v31, v38, v39 offset1:114
	ds_store_2addr_b32 v30, v40, v36 offset1:114
	ds_store_2addr_b32 v44, v35, v49 offset0:100 offset1:214
	ds_store_2addr_b32 v29, v48, v37 offset1:114
	ds_store_2addr_b32 v33, v54, v57 offset0:100 offset1:214
	s_waitcnt lgkmcnt(0)
	s_barrier
	buffer_gl0_inv
	ds_load_2addr_b32 v[39:40], v25 offset0:8 offset1:198
	ds_load_2addr_b32 v[41:42], v26 offset0:16 offset1:206
	;; [unrolled: 1-line block ×4, first 2 shown]
	ds_load_b32 v68, v22
	ds_load_b32 v66, v23
                                        ; implicit-def: $vgpr58
                                        ; implicit-def: $vgpr59
                                        ; implicit-def: $vgpr60
	s_and_saveexec_b32 s11, s2
	s_cbranch_execz .LBB0_28
; %bb.27:
	ds_load_b32 v57, v22 offset:3344
	ds_load_b32 v60, v22 offset:5168
	;; [unrolled: 1-line block ×3, first 2 shown]
	ds_load_b32 v54, v24
	ds_load_b32 v58, v22 offset:8816
.LBB0_28:
	s_or_b32 exec_lo, exec_lo, s11
	v_mul_f32_e32 v12, v16, v12
	v_mul_f32_e32 v8, v17, v8
	v_fma_f32 v2, v2, 2.0, -v15
	v_mul_f32_e32 v4, v14, v4
	v_fma_f32 v10, v10, 2.0, -v47
	v_fmac_f32_e32 v12, v20, v11
	v_fmac_f32_e32 v8, v21, v7
	v_fma_f32 v6, v6, 2.0, -v19
	v_fmac_f32_e32 v4, v18, v3
	s_waitcnt lgkmcnt(0)
	v_sub_f32_e32 v3, v34, v12
	v_sub_f32_e32 v7, v32, v8
	s_barrier
	v_sub_f32_e32 v4, v46, v4
	buffer_gl0_inv
	v_fma_f32 v8, v34, 2.0, -v3
	v_fma_f32 v11, v32, 2.0, -v7
	v_add_f32_e32 v1, v3, v1
	v_fma_f32 v12, v46, 2.0, -v4
	s_delay_alu instid0(VALU_DEP_4) | instskip(NEXT) | instid1(VALU_DEP_4)
	v_dual_add_f32 v5, v7, v5 :: v_dual_sub_f32 v10, v8, v10
	v_sub_f32_e32 v6, v11, v6
	v_add_f32_e32 v62, v4, v9
	s_delay_alu instid0(VALU_DEP_4)
	v_sub_f32_e32 v55, v12, v2
	v_fma_f32 v3, v3, 2.0, -v1
	v_fma_f32 v2, v8, 2.0, -v10
	;; [unrolled: 1-line block ×6, first 2 shown]
	ds_store_2addr_b32 v31, v2, v3 offset1:114
	ds_store_2addr_b32 v45, v10, v1 offset0:100 offset1:214
	ds_store_2addr_b32 v30, v8, v7 offset1:114
	ds_store_2addr_b32 v44, v6, v5 offset0:100 offset1:214
	ds_store_2addr_b32 v29, v9, v4 offset1:114
	ds_store_2addr_b32 v33, v55, v62 offset0:100 offset1:214
	s_waitcnt lgkmcnt(0)
	s_barrier
	buffer_gl0_inv
	ds_load_2addr_b32 v[46:47], v25 offset0:8 offset1:198
	ds_load_2addr_b32 v[50:51], v26 offset0:16 offset1:206
	;; [unrolled: 1-line block ×4, first 2 shown]
	ds_load_b32 v69, v22
	ds_load_b32 v67, v23
                                        ; implicit-def: $vgpr64
                                        ; implicit-def: $vgpr63
                                        ; implicit-def: $vgpr65
	s_and_saveexec_b32 s11, s2
	s_cbranch_execz .LBB0_30
; %bb.29:
	ds_load_b32 v62, v22 offset:3344
	ds_load_b32 v65, v22 offset:5168
	ds_load_b32 v63, v22 offset:6992
	ds_load_b32 v55, v24
	ds_load_b32 v64, v22 offset:8816
.LBB0_30:
	s_or_b32 exec_lo, exec_lo, s11
	v_mul_lo_u16 v1, v52, 22
	s_load_b64 s[0:1], s[0:1], 0x8
	s_delay_alu instid0(VALU_DEP_1) | instskip(NEXT) | instid1(VALU_DEP_1)
	v_lshrrev_b16 v56, 8, v1
	v_mul_lo_u16 v1, v56, 12
	s_delay_alu instid0(VALU_DEP_1) | instskip(NEXT) | instid1(VALU_DEP_1)
	v_sub_nc_u16 v1, v52, v1
	v_and_b32_e32 v1, 0xff, v1
	s_delay_alu instid0(VALU_DEP_1)
	v_add_nc_u32_e32 v3, 12, v1
	v_add_nc_u32_e32 v4, 24, v1
	;; [unrolled: 1-line block ×3, first 2 shown]
	v_mul_lo_u32 v2, v13, v1
	v_or_b32_e32 v10, 48, v1
	v_mul_lo_u32 v11, v13, v3
	v_mul_lo_u32 v12, v13, v4
	v_mul_lo_u32 v9, v13, v9
	v_lshlrev_b32_e32 v5, 5, v1
	v_mul_lo_u32 v10, v13, v10
	v_and_b32_e32 v14, 0xff, v2
	v_lshrrev_b32_e32 v15, 5, v2
	v_and_b32_e32 v16, 0xff, v11
	v_lshrrev_b32_e32 v11, 5, v11
	v_and_b32_e32 v17, 0xff, v12
	v_and_b32_e32 v18, 0xff, v9
	v_lshlrev_b32_e32 v14, 3, v14
	v_lshrrev_b32_e32 v12, 5, v12
	v_lshrrev_b32_e32 v9, 5, v9
	v_and_b32_e32 v19, 0xff, v10
	v_lshrrev_b32_e32 v10, 5, v10
	v_and_b32_e32 v15, 0x7f8, v15
	v_lshlrev_b32_e32 v16, 3, v16
	v_and_b32_e32 v11, 0x7f8, v11
	v_lshlrev_b32_e32 v17, 3, v17
	v_lshlrev_b32_e32 v18, 3, v18
	s_clause 0x1
	global_load_b128 v[1:4], v5, s[6:7] offset:88
	global_load_b128 v[5:8], v5, s[6:7] offset:72
	v_and_b32_e32 v12, 0x7f8, v12
	v_and_b32_e32 v9, 0x7f8, v9
	v_lshlrev_b32_e32 v70, 3, v19
	v_and_b32_e32 v10, 0x7f8, v10
	s_waitcnt lgkmcnt(0)
	s_clause 0x9
	global_load_b64 v[31:32], v14, s[0:1]
	global_load_b64 v[33:34], v15, s[0:1] offset:2048
	global_load_b64 v[27:28], v16, s[0:1]
	global_load_b64 v[29:30], v11, s[0:1] offset:2048
	global_load_b64 v[23:24], v17, s[0:1]
	global_load_b64 v[25:26], v12, s[0:1] offset:2048
	global_load_b64 v[19:20], v18, s[0:1]
	global_load_b64 v[21:22], v9, s[0:1] offset:2048
	global_load_b64 v[15:16], v70, s[0:1]
	global_load_b64 v[17:18], v10, s[0:1] offset:2048
	v_add_nc_u32_e32 v14, s10, v43
	s_and_saveexec_b32 s2, s3
	s_cbranch_execz .LBB0_32
; %bb.31:
	v_and_b32_e32 v43, 0xffff, v61
	s_delay_alu instid0(VALU_DEP_1)
	v_mul_lo_u32 v74, v13, v43
	s_waitcnt vmcnt(1)
	v_mad_u64_u32 v[122:123], null, s8, v43, v[14:15]
	v_dual_mov_b32 v123, 0 :: v_dual_add_nc_u32 v130, 36, v43
	v_add_nc_u32_e32 v126, 12, v43
	v_or_b32_e32 v128, 24, v43
	v_or_b32_e32 v132, 48, v43
	v_and_b32_e32 v78, 0xff, v74
	v_lshrrev_b32_e32 v74, 5, v74
	v_mad_u64_u32 v[124:125], null, s8, v126, v[14:15]
	v_mov_b32_e32 v125, v123
	v_mul_lo_u32 v80, v13, v126
	v_mad_u64_u32 v[126:127], null, s8, v128, v[14:15]
	v_mov_b32_e32 v127, v123
	v_lshlrev_b32_e32 v61, 5, v43
	v_lshlrev_b32_e32 v78, 3, v78
	v_and_b32_e32 v74, 0x7f8, v74
	v_mul_lo_u32 v77, v13, v130
	v_mul_lo_u32 v79, v13, v128
	v_mad_u64_u32 v[128:129], null, s8, v130, v[14:15]
	v_mad_u64_u32 v[130:131], null, s8, v132, v[14:15]
	v_mov_b32_e32 v131, v123
	s_clause 0x1
	global_load_b128 v[9:12], v61, s[6:7] offset:72
	global_load_b128 v[70:73], v61, s[6:7] offset:88
	v_mov_b32_e32 v129, v123
	s_clause 0x1
	global_load_b64 v[82:83], v78, s[0:1]
	global_load_b64 v[84:85], v74, s[0:1] offset:2048
	v_mul_lo_u16 v61, v53, 22
	v_mul_lo_u32 v75, v13, v132
	v_and_b32_e32 v86, 0xff, v77
	v_lshrrev_b32_e32 v77, 5, v77
	v_and_b32_e32 v87, 0xff, v79
	v_lshrrev_b16 v61, 8, v61
	v_lshrrev_b32_e32 v79, 5, v79
	v_and_b32_e32 v74, 0xff, v80
	v_lshrrev_b32_e32 v78, 5, v80
	v_and_b32_e32 v81, 0xff, v75
	v_mul_lo_u16 v76, v61, 12
	v_lshrrev_b32_e32 v75, 5, v75
	v_lshlrev_b32_e32 v80, 3, v86
	v_and_b32_e32 v77, 0x7f8, v77
	v_and_b32_e32 v79, 0x7f8, v79
	v_sub_nc_u16 v76, v53, v76
	v_and_b32_e32 v75, 0x7f8, v75
	v_lshlrev_b32_e32 v74, 3, v74
	v_and_b32_e32 v78, 0x7f8, v78
	v_lshlrev_b64 v[132:133], 3, v[122:123]
	v_and_b32_e32 v102, 0xff, v76
	v_lshlrev_b32_e32 v76, 3, v81
	v_lshlrev_b32_e32 v81, 3, v87
	v_lshlrev_b64 v[124:125], 3, v[124:125]
	v_lshlrev_b64 v[126:127], 3, v[126:127]
	v_lshlrev_b32_e32 v103, 5, v102
	s_clause 0x7
	global_load_b64 v[86:87], v76, s[0:1]
	global_load_b64 v[88:89], v75, s[0:1] offset:2048
	global_load_b64 v[90:91], v80, s[0:1]
	global_load_b64 v[92:93], v77, s[0:1] offset:2048
	;; [unrolled: 2-line block ×4, first 2 shown]
	s_clause 0x1
	global_load_b128 v[74:77], v103, s[6:7] offset:72
	global_load_b128 v[78:81], v103, s[6:7] offset:88
	v_mul_lo_u32 v103, v13, v102
	v_or_b32_e32 v105, 48, v102
	v_add_nc_u32_e32 v106, 36, v102
	v_add_nc_u32_e32 v108, 24, v102
	;; [unrolled: 1-line block ×3, first 2 shown]
	v_lshlrev_b64 v[128:129], 3, v[128:129]
	v_mul_lo_u32 v110, v13, v105
	v_mul_lo_u32 v106, v13, v106
	v_and_b32_e32 v104, 0xff, v103
	v_lshrrev_b32_e32 v103, 5, v103
	v_lshlrev_b64 v[130:131], 3, v[130:131]
	s_delay_alu instid0(VALU_DEP_3) | instskip(NEXT) | instid1(VALU_DEP_3)
	v_lshlrev_b32_e32 v104, 3, v104
	v_and_b32_e32 v107, 0x7f8, v103
	s_clause 0x1
	global_load_b64 v[102:103], v104, s[0:1]
	global_load_b64 v[104:105], v107, s[0:1] offset:2048
	v_mul_lo_u32 v107, v13, v108
	v_and_b32_e32 v108, 0xff, v110
	s_delay_alu instid0(VALU_DEP_1) | instskip(NEXT) | instid1(VALU_DEP_3)
	v_lshlrev_b32_e32 v108, 3, v108
	v_and_b32_e32 v111, 0xff, v107
	v_lshrrev_b32_e32 v107, 5, v107
	s_delay_alu instid0(VALU_DEP_2) | instskip(NEXT) | instid1(VALU_DEP_2)
	v_lshlrev_b32_e32 v114, 3, v111
	v_and_b32_e32 v116, 0x7f8, v107
	s_waitcnt vmcnt(12)
	v_mul_f32_e32 v146, v83, v85
	v_mul_lo_u32 v13, v13, v109
	v_lshrrev_b32_e32 v109, 5, v110
	v_and_b32_e32 v110, 0xff, v106
	v_lshrrev_b32_e32 v106, 5, v106
	s_delay_alu instid0(VALU_DEP_3) | instskip(NEXT) | instid1(VALU_DEP_3)
	v_and_b32_e32 v109, 0x7f8, v109
	v_lshlrev_b32_e32 v110, 3, v110
	v_and_b32_e32 v112, 0xff, v13
	v_lshrrev_b32_e32 v13, 5, v13
	v_and_b32_e32 v113, 0x7f8, v106
	s_clause 0x1
	global_load_b64 v[106:107], v108, s[0:1]
	global_load_b64 v[108:109], v109, s[0:1] offset:2048
	v_lshlrev_b32_e32 v118, 3, v112
	v_and_b32_e32 v13, 0x7f8, v13
	s_clause 0x5
	global_load_b64 v[110:111], v110, s[0:1]
	global_load_b64 v[112:113], v113, s[0:1] offset:2048
	global_load_b64 v[114:115], v114, s[0:1]
	global_load_b64 v[116:117], v116, s[0:1] offset:2048
	;; [unrolled: 2-line block ×3, first 2 shown]
	v_and_b32_e32 v13, 0xffff, v61
	v_add_co_u32 v132, s0, s4, v132
	s_delay_alu instid0(VALU_DEP_1) | instskip(NEXT) | instid1(VALU_DEP_3)
	v_add_co_ci_u32_e64 v133, s0, s5, v133, s0
	v_mul_u32_u24_e32 v13, 48, v13
	v_add_co_u32 v124, s0, s4, v124
	s_delay_alu instid0(VALU_DEP_1) | instskip(NEXT) | instid1(VALU_DEP_3)
	v_add_co_ci_u32_e64 v125, s0, s5, v125, s0
	v_or_b32_e32 v13, v13, v53
	v_add_co_u32 v126, s0, s4, v126
	s_delay_alu instid0(VALU_DEP_1) | instskip(NEXT) | instid1(VALU_DEP_3)
	v_add_co_ci_u32_e64 v127, s0, s5, v127, s0
	v_add_nc_u32_e32 v43, 12, v13
	v_add_nc_u32_e32 v61, 36, v13
	v_mad_u64_u32 v[134:135], null, s8, v13, v[14:15]
	v_add_co_u32 v128, s0, s4, v128
	s_delay_alu instid0(VALU_DEP_4) | instskip(NEXT) | instid1(VALU_DEP_4)
	v_mad_u64_u32 v[136:137], null, s8, v43, v[14:15]
	v_mad_u64_u32 v[140:141], null, s8, v61, v[14:15]
	v_mul_f32_e32 v43, v41, v12
	v_dual_mul_f32 v61, v35, v71 :: v_dual_mul_f32 v12, v50, v12
	v_mul_f32_e32 v71, v44, v71
	v_add_co_ci_u32_e64 v129, s0, s5, v129, s0
	s_delay_alu instid0(VALU_DEP_4) | instskip(NEXT) | instid1(VALU_DEP_4)
	v_fmac_f32_e32 v43, v50, v11
	v_fmac_f32_e32 v61, v44, v70
	v_fma_f32 v11, v41, v11, -v12
	v_fma_f32 v12, v35, v70, -v71
	v_add_co_u32 v130, s0, s4, v130
	s_delay_alu instid0(VALU_DEP_4) | instskip(SKIP_1) | instid1(VALU_DEP_4)
	v_sub_f32_e32 v145, v43, v61
	v_add_nc_u32_e32 v53, 24, v13
	v_dual_add_f32 v122, v11, v12 :: v_dual_add_nc_u32 v13, 48, v13
	v_add_f32_e32 v41, v43, v61
	v_add_co_ci_u32_e64 v131, s0, s5, v131, s0
	s_delay_alu instid0(VALU_DEP_4) | instskip(NEXT) | instid1(VALU_DEP_4)
	v_mad_u64_u32 v[138:139], null, s8, v53, v[14:15]
	v_mad_u64_u32 v[142:143], null, s8, v13, v[14:15]
	v_mul_f32_e32 v13, v39, v10
	v_dual_mul_f32 v10, v46, v10 :: v_dual_mul_f32 v53, v37, v73
	v_mul_f32_e32 v73, v48, v73
	v_fma_f32 v41, -0.5, v41, v69
	s_delay_alu instid0(VALU_DEP_4) | instskip(NEXT) | instid1(VALU_DEP_4)
	v_fmac_f32_e32 v13, v46, v9
	v_fma_f32 v9, v39, v9, -v10
	v_fmac_f32_e32 v53, v48, v72
	v_fma_f32 v10, v37, v72, -v73
	v_sub_f32_e32 v39, v11, v12
	v_sub_f32_e32 v35, v13, v43
	;; [unrolled: 1-line block ×3, first 2 shown]
	s_delay_alu instid0(VALU_DEP_4)
	v_dual_sub_f32 v37, v53, v61 :: v_dual_sub_f32 v48, v10, v12
	v_dual_sub_f32 v71, v11, v9 :: v_dual_sub_f32 v72, v12, v10
	v_sub_f32_e32 v44, v9, v10
	v_add_f32_e32 v143, v9, v10
	v_add_f32_e32 v9, v68, v9
	;; [unrolled: 1-line block ×4, first 2 shown]
	v_dual_add_f32 v48, v71, v72 :: v_dual_mul_f32 v85, v82, v85
	s_delay_alu instid0(VALU_DEP_4)
	v_add_f32_e32 v9, v9, v11
	v_fma_f32 v11, v82, v84, -v146
	s_waitcnt vmcnt(14)
	v_mul_f32_e32 v82, v95, v97
	v_dual_sub_f32 v50, v43, v13 :: v_dual_fmac_f32 v85, v84, v83
	v_mul_f32_e32 v83, v94, v97
	s_waitcnt vmcnt(11)
	v_mul_f32_e32 v97, v40, v75
	v_dual_mul_f32 v75, v47, v75 :: v_dual_sub_f32 v70, v61, v53
	v_add_f32_e32 v144, v69, v13
	v_mul_f32_e32 v72, v91, v93
	v_mul_f32_e32 v84, v99, v101
	s_delay_alu instid0(VALU_DEP_4) | instskip(SKIP_4) | instid1(VALU_DEP_4)
	v_fma_f32 v40, v40, v74, -v75
	v_dual_add_f32 v73, v13, v53 :: v_dual_add_f32 v46, v50, v70
	v_add_f32_e32 v43, v144, v43
	v_fmac_f32_e32 v97, v47, v74
	v_mul_f32_e32 v70, v87, v89
	v_fma_f32 v50, -0.5, v73, v69
	v_fma_f32 v69, -0.5, v122, v68
	v_mul_f32_e32 v73, v90, v93
	s_waitcnt vmcnt(10)
	v_dual_mul_f32 v93, v42, v77 :: v_dual_mul_f32 v122, v36, v79
	v_fma_f32 v68, -0.5, v143, v68
	v_add_f32_e32 v43, v43, v61
	v_mul_f32_e32 v77, v51, v77
	s_delay_alu instid0(VALU_DEP_4)
	v_dual_fmac_f32 v93, v51, v76 :: v_dual_fmac_f32 v122, v45, v78
	v_fmamk_f32 v61, v39, 0xbf737871, v50
	v_fmac_f32_e32 v50, 0x3f737871, v39
	v_mul_f32_e32 v79, v45, v79
	v_fma_f32 v70, v86, v88, -v70
	v_sub_f32_e32 v74, v93, v122
	v_fmamk_f32 v146, v145, 0x3f737871, v68
	v_dual_fmac_f32 v68, 0xbf737871, v145 :: v_dual_add_f32 v9, v9, v12
	v_dual_fmac_f32 v50, 0xbf167918, v44 :: v_dual_sub_f32 v13, v13, v53
	v_fma_f32 v12, v42, v76, -v77
	v_fma_f32 v42, v36, v78, -v79
	s_delay_alu instid0(VALU_DEP_4) | instskip(NEXT) | instid1(VALU_DEP_4)
	v_add_f32_e32 v9, v9, v10
	v_fmac_f32_e32 v50, 0x3e9e377a, v46
	v_fmamk_f32 v144, v13, 0xbf737871, v69
	v_fmac_f32_e32 v69, 0x3f737871, v13
	v_fmac_f32_e32 v146, 0xbf167918, v13
	;; [unrolled: 1-line block ×3, first 2 shown]
	v_add_f32_e32 v13, v43, v53
	v_fmac_f32_e32 v144, 0xbf167918, v145
	v_dual_mul_f32 v10, v9, v85 :: v_dual_fmamk_f32 v143, v44, 0x3f737871, v41
	v_sub_f32_e32 v36, v97, v93
	v_dual_mul_f32 v71, v86, v89 :: v_dual_sub_f32 v78, v12, v40
	v_fmac_f32_e32 v146, 0x3e9e377a, v48
	s_delay_alu instid0(VALU_DEP_4) | instskip(SKIP_3) | instid1(VALU_DEP_4)
	v_fmac_f32_e32 v143, 0x3f167918, v39
	v_fmac_f32_e32 v68, 0x3e9e377a, v48
	v_dual_fmac_f32 v10, v13, v11 :: v_dual_fmac_f32 v83, v95, v96
	v_mul_f32_e32 v89, v98, v101
	v_fmac_f32_e32 v143, 0x3e9e377a, v35
	v_mul_f32_e32 v101, v38, v81
	v_mul_f32_e32 v81, v49, v81
	v_fmac_f32_e32 v61, 0x3f167918, v44
	v_dual_add_f32 v51, v12, v42 :: v_dual_fmac_f32 v144, 0x3e9e377a, v37
	v_fma_f32 v84, v98, v100, -v84
	s_delay_alu instid0(VALU_DEP_4) | instskip(SKIP_1) | instid1(VALU_DEP_4)
	v_fma_f32 v45, v38, v80, -v81
	v_fmac_f32_e32 v41, 0xbf737871, v44
	v_fma_f32 v51, -0.5, v51, v66
	v_sub_f32_e32 v43, v12, v42
	s_delay_alu instid0(VALU_DEP_4)
	v_dual_fmac_f32 v61, 0x3e9e377a, v46 :: v_dual_add_f32 v48, v40, v45
	v_sub_f32_e32 v44, v40, v45
	v_sub_f32_e32 v46, v42, v45
	v_fma_f32 v72, v90, v92, -v72
	v_fma_f32 v82, v94, v96, -v82
	v_fma_f32 v48, -0.5, v48, v66
	v_sub_f32_e32 v47, v40, v12
	v_add_f32_e32 v40, v66, v40
	v_dual_add_f32 v46, v78, v46 :: v_dual_mov_b32 v135, v123
	v_mov_b32_e32 v137, v123
	s_delay_alu instid0(VALU_DEP_3) | instskip(SKIP_1) | instid1(VALU_DEP_4)
	v_dual_mov_b32 v139, v123 :: v_dual_add_f32 v66, v40, v12
	v_fmac_f32_e32 v71, v87, v88
	v_lshlrev_b64 v[134:135], 3, v[134:135]
	s_delay_alu instid0(VALU_DEP_4) | instskip(SKIP_4) | instid1(VALU_DEP_1)
	v_lshlrev_b64 v[136:137], 3, v[136:137]
	v_mov_b32_e32 v141, v123
	v_lshlrev_b64 v[138:139], 3, v[138:139]
	v_dual_mul_f32 v12, v144, v71 :: v_dual_fmac_f32 v73, v91, v92
	v_add_co_u32 v134, s0, s4, v134
	v_add_co_ci_u32_e64 v135, s0, s5, v135, s0
	s_delay_alu instid0(VALU_DEP_3)
	v_dual_fmac_f32 v12, v143, v70 :: v_dual_fmac_f32 v101, v49, v80
	v_sub_f32_e32 v49, v45, v42
	v_add_f32_e32 v42, v66, v42
	s_waitcnt vmcnt(8)
	v_mul_f32_e32 v80, v102, v105
	v_fmamk_f32 v66, v74, 0x3f737871, v48
	v_dual_fmac_f32 v48, 0xbf737871, v74 :: v_dual_add_f32 v47, v47, v49
	v_add_f32_e32 v42, v42, v45
	s_delay_alu instid0(VALU_DEP_4) | instskip(SKIP_1) | instid1(VALU_DEP_1)
	v_fmac_f32_e32 v80, v103, v104
	v_add_co_u32 v136, s0, s4, v136
	v_add_co_ci_u32_e64 v137, s0, s5, v137, s0
	s_waitcnt vmcnt(6)
	v_mul_f32_e32 v78, v106, v109
	s_waitcnt vmcnt(2)
	v_mul_f32_e32 v86, v115, v117
	v_dual_sub_f32 v38, v101, v122 :: v_dual_mul_f32 v87, v114, v117
	s_delay_alu instid0(VALU_DEP_3) | instskip(SKIP_2) | instid1(VALU_DEP_3)
	v_fmac_f32_e32 v78, v107, v108
	v_sub_f32_e32 v76, v122, v101
	s_waitcnt vmcnt(0)
	v_dual_mul_f32 v88, v119, v121 :: v_dual_add_f32 v81, v36, v38
	v_dual_mul_f32 v36, v146, v73 :: v_dual_fmac_f32 v41, 0xbf167918, v39
	v_dual_add_f32 v39, v93, v122 :: v_dual_mul_f32 v38, v68, v83
	v_fmac_f32_e32 v89, v99, v100
	v_fmac_f32_e32 v87, v115, v116
	v_add_f32_e32 v79, v67, v97
	s_delay_alu instid0(VALU_DEP_4) | instskip(SKIP_2) | instid1(VALU_DEP_4)
	v_fma_f32 v49, -0.5, v39, v67
	v_dual_fmac_f32 v36, v61, v72 :: v_dual_fmac_f32 v41, 0x3e9e377a, v35
	v_mul_f32_e32 v35, v13, v85
	v_dual_add_f32 v39, v79, v93 :: v_dual_fmac_f32 v38, v50, v82
	v_mul_f32_e32 v13, v107, v109
	v_mul_f32_e32 v85, v110, v113
	s_delay_alu instid0(VALU_DEP_4) | instskip(NEXT) | instid1(VALU_DEP_4)
	v_fma_f32 v9, v9, v11, -v35
	v_dual_add_f32 v90, v39, v122 :: v_dual_fmac_f32 v69, 0x3f167918, v145
	s_delay_alu instid0(VALU_DEP_4)
	v_fma_f32 v13, v106, v108, -v13
	v_mul_f32_e32 v71, v143, v71
	global_store_b64 v[132:133], v[9:10], off
	v_add_f32_e32 v9, v90, v101
	v_dual_fmac_f32 v69, 0x3e9e377a, v37 :: v_dual_mul_f32 v10, v42, v80
	v_mul_f32_e32 v37, v103, v105
	v_fma_f32 v11, v144, v70, -v71
	v_fmamk_f32 v70, v44, 0x3f737871, v49
	s_delay_alu instid0(VALU_DEP_4) | instskip(SKIP_4) | instid1(VALU_DEP_4)
	v_mul_f32_e32 v40, v69, v89
	v_sub_f32_e32 v53, v97, v101
	v_add_f32_e32 v77, v97, v101
	v_fma_f32 v79, v102, v104, -v37
	v_fmac_f32_e32 v49, 0xbf737871, v44
	v_dual_fmac_f32 v85, v111, v112 :: v_dual_fmac_f32 v66, 0xbf167918, v53
	s_delay_alu instid0(VALU_DEP_4) | instskip(SKIP_2) | instid1(VALU_DEP_4)
	v_fma_f32 v67, -0.5, v77, v67
	v_mul_f32_e32 v77, v41, v89
	v_mul_f32_e32 v89, v118, v121
	v_dual_mul_f32 v73, v61, v73 :: v_dual_fmac_f32 v66, 0x3e9e377a, v46
	v_fmac_f32_e32 v48, 0x3f167918, v53
	v_sub_f32_e32 v75, v93, v97
	s_delay_alu instid0(VALU_DEP_4) | instskip(SKIP_2) | instid1(VALU_DEP_4)
	v_fmac_f32_e32 v89, v119, v120
	v_fmamk_f32 v71, v53, 0xbf737871, v51
	v_fmac_f32_e32 v51, 0x3f737871, v53
	v_dual_fmac_f32 v48, 0x3e9e377a, v46 :: v_dual_add_f32 v75, v75, v76
	v_mul_f32_e32 v76, v50, v83
	s_delay_alu instid0(VALU_DEP_3)
	v_dual_fmac_f32 v40, v41, v84 :: v_dual_fmac_f32 v51, 0x3f167918, v74
	v_fmac_f32_e32 v49, 0xbf167918, v43
	v_fmac_f32_e32 v10, v9, v79
	v_fma_f32 v39, v69, v84, -v77
	v_fma_f32 v37, v68, v82, -v76
	v_fmac_f32_e32 v51, 0x3e9e377a, v47
	v_fma_f32 v35, v146, v72, -v73
	v_fma_f32 v61, v118, v120, -v88
	s_clause 0x3
	global_store_b64 v[124:125], v[39:40], off
	global_store_b64 v[126:127], v[37:38], off
	;; [unrolled: 1-line block ×4, first 2 shown]
	v_mul_f32_e32 v36, v66, v85
	v_fmac_f32_e32 v49, 0x3e9e377a, v81
	v_mul_f32_e32 v40, v51, v89
	v_fmamk_f32 v91, v43, 0xbf737871, v67
	v_dual_mul_f32 v83, v111, v113 :: v_dual_fmac_f32 v70, 0x3f167918, v43
	s_delay_alu instid0(VALU_DEP_3) | instskip(NEXT) | instid1(VALU_DEP_3)
	v_dual_fmac_f32 v71, 0xbf167918, v74 :: v_dual_fmac_f32 v40, v49, v61
	v_fmac_f32_e32 v91, 0x3f167918, v44
	s_delay_alu instid0(VALU_DEP_3) | instskip(NEXT) | instid1(VALU_DEP_3)
	v_fma_f32 v41, v110, v112, -v83
	v_dual_fmac_f32 v70, 0x3e9e377a, v81 :: v_dual_fmac_f32 v71, 0x3e9e377a, v47
	v_mul_f32_e32 v11, v9, v80
	s_delay_alu instid0(VALU_DEP_4) | instskip(SKIP_1) | instid1(VALU_DEP_4)
	v_fmac_f32_e32 v91, 0x3e9e377a, v75
	v_fmac_f32_e32 v67, 0x3f737871, v43
	v_mul_f32_e32 v35, v70, v78
	v_fma_f32 v50, v114, v116, -v86
	v_mul_f32_e32 v43, v49, v89
	s_delay_alu instid0(VALU_DEP_4)
	v_dual_fmac_f32 v36, v91, v41 :: v_dual_fmac_f32 v67, 0xbf167918, v44
	v_mul_f32_e32 v37, v91, v85
	v_mov_b32_e32 v143, v123
	v_fma_f32 v9, v42, v79, -v11
	v_fma_f32 v11, v71, v13, -v35
	v_fmac_f32_e32 v67, 0x3e9e377a, v75
	v_fma_f32 v35, v66, v41, -v37
	v_lshlrev_b64 v[41:42], 3, v[140:141]
	v_lshlrev_b64 v[45:46], 3, v[142:143]
	v_mul_f32_e32 v38, v48, v87
	v_mul_f32_e32 v39, v67, v87
	;; [unrolled: 1-line block ×3, first 2 shown]
	s_delay_alu instid0(VALU_DEP_3) | instskip(NEXT) | instid1(VALU_DEP_3)
	v_fmac_f32_e32 v38, v67, v50
	v_fma_f32 v37, v48, v50, -v39
	v_fma_f32 v39, v51, v61, -v43
	v_add_co_u32 v43, s0, s4, v138
	s_delay_alu instid0(VALU_DEP_1) | instskip(SKIP_1) | instid1(VALU_DEP_1)
	v_add_co_ci_u32_e64 v44, s0, s5, v139, s0
	v_add_co_u32 v41, s0, s4, v41
	v_add_co_ci_u32_e64 v42, s0, s5, v42, s0
	v_add_co_u32 v45, s0, s4, v45
	v_fmac_f32_e32 v12, v70, v13
	v_add_co_ci_u32_e64 v46, s0, s5, v46, s0
	s_clause 0x4
	global_store_b64 v[134:135], v[9:10], off
	global_store_b64 v[136:137], v[39:40], off
	;; [unrolled: 1-line block ×5, first 2 shown]
.LBB0_32:
	s_or_b32 exec_lo, exec_lo, s2
	v_cmp_gt_u32_e64 s1, 0x4c, v0
	v_cmp_lt_u32_e64 s0, 0x4b, v0
	v_cndmask_b32_e64 v9, 0, 1, vcc_lo
	s_delay_alu instid0(VALU_DEP_3) | instskip(NEXT) | instid1(VALU_DEP_3)
	v_cndmask_b32_e64 v0, 0, 1, s1
	s_or_b32 vcc_lo, s0, s9
	s_mov_b32 s0, exec_lo
	s_delay_alu instid0(VALU_DEP_1) | instskip(NEXT) | instid1(VALU_DEP_1)
	v_cndmask_b32_e32 v0, v9, v0, vcc_lo
	v_and_b32_e32 v0, 1, v0
	s_delay_alu instid0(VALU_DEP_1)
	v_cmpx_eq_u32_e32 1, v0
	s_cbranch_execz .LBB0_34
; %bb.33:
	s_waitcnt vmcnt(10)
	v_dual_mul_f32 v0, v62, v6 :: v_dual_mul_f32 v9, v65, v8
	v_dual_mul_f32 v10, v63, v2 :: v_dual_mul_f32 v11, v58, v4
	s_delay_alu instid0(VALU_DEP_2) | instskip(SKIP_1) | instid1(VALU_DEP_4)
	v_fma_f32 v0, v57, v5, -v0
	v_mul_f32_e32 v6, v57, v6
	v_fma_f32 v9, v60, v7, -v9
	s_delay_alu instid0(VALU_DEP_4) | instskip(SKIP_1) | instid1(VALU_DEP_4)
	v_fma_f32 v10, v59, v1, -v10
	v_mul_f32_e32 v8, v60, v8
	v_dual_fmac_f32 v11, v64, v3 :: v_dual_fmac_f32 v6, v62, v5
	v_add_f32_e32 v5, v54, v0
	v_mul_f32_e32 v4, v64, v4
	s_delay_alu instid0(VALU_DEP_4) | instskip(SKIP_1) | instid1(VALU_DEP_4)
	v_dual_fmac_f32 v8, v65, v7 :: v_dual_sub_f32 v35, v0, v9
	v_add_f32_e32 v7, v9, v10
	v_dual_mul_f32 v2, v59, v2 :: v_dual_add_f32 v5, v5, v9
	s_delay_alu instid0(VALU_DEP_4) | instskip(NEXT) | instid1(VALU_DEP_3)
	v_fma_f32 v3, v58, v3, -v4
	v_fma_f32 v12, -0.5, v7, v54
	s_delay_alu instid0(VALU_DEP_3) | instskip(NEXT) | instid1(VALU_DEP_4)
	v_dual_sub_f32 v7, v6, v11 :: v_dual_fmac_f32 v2, v63, v1
	v_add_f32_e32 v1, v5, v10
	s_delay_alu instid0(VALU_DEP_4) | instskip(NEXT) | instid1(VALU_DEP_3)
	v_dual_add_f32 v5, v0, v3 :: v_dual_sub_f32 v36, v3, v10
	v_dual_fmamk_f32 v4, v7, 0x3f737871, v12 :: v_dual_sub_f32 v13, v8, v2
	s_delay_alu instid0(VALU_DEP_2) | instskip(NEXT) | instid1(VALU_DEP_3)
	v_dual_add_f32 v1, v1, v3 :: v_dual_fmac_f32 v54, -0.5, v5
	v_dual_add_f32 v5, v35, v36 :: v_dual_fmac_f32 v12, 0xbf737871, v7
	s_delay_alu instid0(VALU_DEP_3) | instskip(SKIP_1) | instid1(VALU_DEP_4)
	v_fmac_f32_e32 v4, 0x3f167918, v13
	v_dual_sub_f32 v36, v9, v0 :: v_dual_sub_f32 v37, v10, v3
	v_dual_fmamk_f32 v35, v13, 0xbf737871, v54 :: v_dual_add_f32 v38, v8, v2
	v_sub_f32_e32 v0, v0, v3
	v_fmac_f32_e32 v54, 0x3f737871, v13
	s_delay_alu instid0(VALU_DEP_3) | instskip(SKIP_2) | instid1(VALU_DEP_3)
	v_dual_add_f32 v36, v36, v37 :: v_dual_fmac_f32 v35, 0x3f167918, v7
	v_dual_add_f32 v37, v55, v6 :: v_dual_fmac_f32 v12, 0xbf167918, v13
	v_fma_f32 v38, -0.5, v38, v55
	v_dual_fmac_f32 v4, 0x3e9e377a, v5 :: v_dual_fmac_f32 v35, 0x3e9e377a, v36
	s_delay_alu instid0(VALU_DEP_3)
	v_dual_add_f32 v3, v37, v8 :: v_dual_fmac_f32 v12, 0x3e9e377a, v5
	v_sub_f32_e32 v5, v9, v10
	v_sub_f32_e32 v9, v6, v8
	v_dual_fmamk_f32 v13, v0, 0xbf737871, v38 :: v_dual_sub_f32 v10, v11, v2
	v_add_f32_e32 v37, v6, v11
	v_dual_fmac_f32 v54, 0xbf167918, v7 :: v_dual_add_f32 v3, v3, v2
	s_delay_alu instid0(VALU_DEP_3) | instskip(NEXT) | instid1(VALU_DEP_4)
	v_dual_fmac_f32 v13, 0xbf167918, v5 :: v_dual_sub_f32 v6, v8, v6
	v_dual_add_f32 v7, v9, v10 :: v_dual_fmac_f32 v38, 0x3f737871, v0
	s_delay_alu instid0(VALU_DEP_3) | instskip(SKIP_1) | instid1(VALU_DEP_2)
	v_dual_fmac_f32 v55, -0.5, v37 :: v_dual_fmac_f32 v54, 0x3e9e377a, v36
	s_waitcnt vmcnt(8)
	v_dual_mul_f32 v8, v31, v34 :: v_dual_fmac_f32 v13, 0x3e9e377a, v7
	s_delay_alu instid0(VALU_DEP_3) | instskip(NEXT) | instid1(VALU_DEP_3)
	v_dual_add_f32 v3, v3, v11 :: v_dual_fmac_f32 v38, 0x3f167918, v5
	v_dual_fmamk_f32 v9, v5, 0x3f737871, v55 :: v_dual_sub_f32 v2, v2, v11
	v_fmac_f32_e32 v55, 0xbf737871, v5
	s_delay_alu instid0(VALU_DEP_3) | instskip(NEXT) | instid1(VALU_DEP_3)
	v_dual_mul_f32 v5, v32, v34 :: v_dual_fmac_f32 v38, 0x3e9e377a, v7
	v_dual_fmac_f32 v9, 0xbf167918, v0 :: v_dual_fmac_f32 v8, v32, v33
	s_delay_alu instid0(VALU_DEP_3) | instskip(SKIP_3) | instid1(VALU_DEP_3)
	v_dual_add_f32 v2, v6, v2 :: v_dual_fmac_f32 v55, 0x3f167918, v0
	s_waitcnt vmcnt(6)
	v_mul_f32_e32 v6, v27, v30
	v_fma_f32 v5, v31, v33, -v5
	v_dual_mul_f32 v0, v3, v8 :: v_dual_fmac_f32 v9, 0x3e9e377a, v2
	s_delay_alu instid0(VALU_DEP_3) | instskip(SKIP_1) | instid1(VALU_DEP_3)
	v_dual_fmac_f32 v55, 0x3e9e377a, v2 :: v_dual_fmac_f32 v6, v28, v29
	v_mul_f32_e32 v2, v28, v30
	v_fma_f32 v0, v1, v5, -v0
	v_mul_f32_e32 v1, v1, v8
	s_waitcnt vmcnt(4)
	v_mul_f32_e32 v7, v23, v26
	v_mul_f32_e32 v10, v13, v6
	v_fma_f32 v8, v27, v29, -v2
	v_dual_mul_f32 v2, v24, v26 :: v_dual_fmac_f32 v1, v3, v5
	s_delay_alu instid0(VALU_DEP_4) | instskip(SKIP_1) | instid1(VALU_DEP_3)
	v_fmac_f32_e32 v7, v24, v25
	v_mul_f32_e32 v3, v4, v6
	v_fma_f32 v6, v23, v25, -v2
	v_fma_f32 v2, v4, v8, -v10
	s_delay_alu instid0(VALU_DEP_4)
	v_mul_f32_e32 v11, v9, v7
	v_mul_f32_e32 v5, v35, v7
	s_waitcnt vmcnt(0)
	v_dual_fmac_f32 v3, v13, v8 :: v_dual_mul_f32 v10, v15, v18
	v_mul_f32_e32 v8, v20, v22
	v_fma_f32 v4, v35, v6, -v11
	s_delay_alu instid0(VALU_DEP_3) | instskip(NEXT) | instid1(VALU_DEP_3)
	v_dual_mul_f32 v7, v19, v22 :: v_dual_fmac_f32 v10, v16, v17
	v_fma_f32 v13, v19, v21, -v8
	v_mul_f32_e32 v8, v16, v18
	v_dual_fmac_f32 v5, v9, v6 :: v_dual_and_b32 v6, 0xffff, v56
	s_delay_alu instid0(VALU_DEP_4) | instskip(NEXT) | instid1(VALU_DEP_3)
	v_dual_fmac_f32 v7, v20, v21 :: v_dual_mul_f32 v16, v38, v10
	v_fma_f32 v15, v15, v17, -v8
	s_delay_alu instid0(VALU_DEP_3) | instskip(NEXT) | instid1(VALU_DEP_1)
	v_mad_u32_u24 v19, v6, 48, v52
	v_mad_u64_u32 v[8:9], null, s8, v19, v[14:15]
	v_mov_b32_e32 v9, 0
	v_mul_f32_e32 v11, v55, v7
	v_add_nc_u32_e32 v17, 12, v19
	v_mul_f32_e32 v7, v54, v7
	v_add_nc_u32_e32 v23, 48, v19
	s_delay_alu instid0(VALU_DEP_4)
	v_fma_f32 v6, v54, v13, -v11
	v_mul_f32_e32 v11, v12, v10
	v_fma_f32 v10, v12, v15, -v16
	v_fmac_f32_e32 v7, v55, v13
	v_lshlrev_b64 v[12:13], 3, v[8:9]
	v_add_nc_u32_e32 v8, 24, v19
	v_fmac_f32_e32 v11, v38, v15
	v_mad_u64_u32 v[15:16], null, s8, v17, v[14:15]
	v_mov_b32_e32 v16, v9
	v_add_co_u32 v12, vcc_lo, s4, v12
	v_add_co_ci_u32_e32 v13, vcc_lo, s5, v13, vcc_lo
	s_delay_alu instid0(VALU_DEP_4) | instskip(NEXT) | instid1(VALU_DEP_4)
	v_mad_u64_u32 v[17:18], null, s8, v8, v[14:15]
	v_lshlrev_b64 v[15:16], 3, v[15:16]
	v_add_nc_u32_e32 v8, 36, v19
	v_mov_b32_e32 v18, v9
	s_delay_alu instid0(VALU_DEP_2)
	v_mad_u64_u32 v[19:20], null, s8, v8, v[14:15]
	v_mov_b32_e32 v20, v9
	v_mad_u64_u32 v[21:22], null, s8, v23, v[14:15]
	v_mov_b32_e32 v22, v9
	v_lshlrev_b64 v[17:18], 3, v[17:18]
	v_add_co_u32 v14, vcc_lo, s4, v15
	v_lshlrev_b64 v[19:20], 3, v[19:20]
	v_add_co_ci_u32_e32 v15, vcc_lo, s5, v16, vcc_lo
	s_delay_alu instid0(VALU_DEP_4) | instskip(SKIP_4) | instid1(VALU_DEP_4)
	v_add_co_u32 v8, vcc_lo, s4, v17
	v_lshlrev_b64 v[16:17], 3, v[21:22]
	v_add_co_ci_u32_e32 v9, vcc_lo, s5, v18, vcc_lo
	v_add_co_u32 v18, vcc_lo, s4, v19
	v_add_co_ci_u32_e32 v19, vcc_lo, s5, v20, vcc_lo
	v_add_co_u32 v16, vcc_lo, s4, v16
	v_add_co_ci_u32_e32 v17, vcc_lo, s5, v17, vcc_lo
	s_clause 0x4
	global_store_b64 v[12:13], v[0:1], off
	global_store_b64 v[14:15], v[2:3], off
	;; [unrolled: 1-line block ×5, first 2 shown]
.LBB0_34:
	s_nop 0
	s_sendmsg sendmsg(MSG_DEALLOC_VGPRS)
	s_endpgm
	.section	.rodata,"a",@progbits
	.p2align	6, 0x0
	.amdhsa_kernel fft_rtc_fwd_len60_factors_3_4_5_wgs_190_tpt_5_halfLds_dim2_sp_ip_CI_sbcc_twdbase8_2step_dirReg_intrinsicReadWrite
		.amdhsa_group_segment_fixed_size 0
		.amdhsa_private_segment_fixed_size 0
		.amdhsa_kernarg_size 88
		.amdhsa_user_sgpr_count 15
		.amdhsa_user_sgpr_dispatch_ptr 0
		.amdhsa_user_sgpr_queue_ptr 0
		.amdhsa_user_sgpr_kernarg_segment_ptr 1
		.amdhsa_user_sgpr_dispatch_id 0
		.amdhsa_user_sgpr_private_segment_size 0
		.amdhsa_wavefront_size32 1
		.amdhsa_uses_dynamic_stack 0
		.amdhsa_enable_private_segment 0
		.amdhsa_system_sgpr_workgroup_id_x 1
		.amdhsa_system_sgpr_workgroup_id_y 0
		.amdhsa_system_sgpr_workgroup_id_z 0
		.amdhsa_system_sgpr_workgroup_info 0
		.amdhsa_system_vgpr_workitem_id 0
		.amdhsa_next_free_vgpr 147
		.amdhsa_next_free_sgpr 20
		.amdhsa_reserve_vcc 1
		.amdhsa_float_round_mode_32 0
		.amdhsa_float_round_mode_16_64 0
		.amdhsa_float_denorm_mode_32 3
		.amdhsa_float_denorm_mode_16_64 3
		.amdhsa_dx10_clamp 1
		.amdhsa_ieee_mode 1
		.amdhsa_fp16_overflow 0
		.amdhsa_workgroup_processor_mode 1
		.amdhsa_memory_ordered 1
		.amdhsa_forward_progress 0
		.amdhsa_shared_vgpr_count 0
		.amdhsa_exception_fp_ieee_invalid_op 0
		.amdhsa_exception_fp_denorm_src 0
		.amdhsa_exception_fp_ieee_div_zero 0
		.amdhsa_exception_fp_ieee_overflow 0
		.amdhsa_exception_fp_ieee_underflow 0
		.amdhsa_exception_fp_ieee_inexact 0
		.amdhsa_exception_int_div_zero 0
	.end_amdhsa_kernel
	.text
.Lfunc_end0:
	.size	fft_rtc_fwd_len60_factors_3_4_5_wgs_190_tpt_5_halfLds_dim2_sp_ip_CI_sbcc_twdbase8_2step_dirReg_intrinsicReadWrite, .Lfunc_end0-fft_rtc_fwd_len60_factors_3_4_5_wgs_190_tpt_5_halfLds_dim2_sp_ip_CI_sbcc_twdbase8_2step_dirReg_intrinsicReadWrite
                                        ; -- End function
	.section	.AMDGPU.csdata,"",@progbits
; Kernel info:
; codeLenInByte = 7724
; NumSgprs: 22
; NumVgprs: 147
; ScratchSize: 0
; MemoryBound: 0
; FloatMode: 240
; IeeeMode: 1
; LDSByteSize: 0 bytes/workgroup (compile time only)
; SGPRBlocks: 2
; VGPRBlocks: 18
; NumSGPRsForWavesPerEU: 22
; NumVGPRsForWavesPerEU: 147
; Occupancy: 9
; WaveLimiterHint : 1
; COMPUTE_PGM_RSRC2:SCRATCH_EN: 0
; COMPUTE_PGM_RSRC2:USER_SGPR: 15
; COMPUTE_PGM_RSRC2:TRAP_HANDLER: 0
; COMPUTE_PGM_RSRC2:TGID_X_EN: 1
; COMPUTE_PGM_RSRC2:TGID_Y_EN: 0
; COMPUTE_PGM_RSRC2:TGID_Z_EN: 0
; COMPUTE_PGM_RSRC2:TIDIG_COMP_CNT: 0
	.text
	.p2alignl 7, 3214868480
	.fill 96, 4, 3214868480
	.type	__hip_cuid_16cb8c34e9d64f37,@object ; @__hip_cuid_16cb8c34e9d64f37
	.section	.bss,"aw",@nobits
	.globl	__hip_cuid_16cb8c34e9d64f37
__hip_cuid_16cb8c34e9d64f37:
	.byte	0                               ; 0x0
	.size	__hip_cuid_16cb8c34e9d64f37, 1

	.ident	"AMD clang version 19.0.0git (https://github.com/RadeonOpenCompute/llvm-project roc-6.4.0 25133 c7fe45cf4b819c5991fe208aaa96edf142730f1d)"
	.section	".note.GNU-stack","",@progbits
	.addrsig
	.addrsig_sym __hip_cuid_16cb8c34e9d64f37
	.amdgpu_metadata
---
amdhsa.kernels:
  - .args:
      - .actual_access:  read_only
        .address_space:  global
        .offset:         0
        .size:           8
        .value_kind:     global_buffer
      - .address_space:  global
        .offset:         8
        .size:           8
        .value_kind:     global_buffer
      - .actual_access:  read_only
        .address_space:  global
        .offset:         16
        .size:           8
        .value_kind:     global_buffer
      - .actual_access:  read_only
        .address_space:  global
        .offset:         24
        .size:           8
        .value_kind:     global_buffer
      - .offset:         32
        .size:           8
        .value_kind:     by_value
      - .actual_access:  read_only
        .address_space:  global
        .offset:         40
        .size:           8
        .value_kind:     global_buffer
      - .actual_access:  read_only
        .address_space:  global
        .offset:         48
        .size:           8
        .value_kind:     global_buffer
      - .offset:         56
        .size:           4
        .value_kind:     by_value
      - .actual_access:  read_only
        .address_space:  global
        .offset:         64
        .size:           8
        .value_kind:     global_buffer
      - .actual_access:  read_only
        .address_space:  global
        .offset:         72
        .size:           8
        .value_kind:     global_buffer
      - .address_space:  global
        .offset:         80
        .size:           8
        .value_kind:     global_buffer
    .group_segment_fixed_size: 0
    .kernarg_segment_align: 8
    .kernarg_segment_size: 88
    .language:       OpenCL C
    .language_version:
      - 2
      - 0
    .max_flat_workgroup_size: 190
    .name:           fft_rtc_fwd_len60_factors_3_4_5_wgs_190_tpt_5_halfLds_dim2_sp_ip_CI_sbcc_twdbase8_2step_dirReg_intrinsicReadWrite
    .private_segment_fixed_size: 0
    .sgpr_count:     22
    .sgpr_spill_count: 0
    .symbol:         fft_rtc_fwd_len60_factors_3_4_5_wgs_190_tpt_5_halfLds_dim2_sp_ip_CI_sbcc_twdbase8_2step_dirReg_intrinsicReadWrite.kd
    .uniform_work_group_size: 1
    .uses_dynamic_stack: false
    .vgpr_count:     147
    .vgpr_spill_count: 0
    .wavefront_size: 32
    .workgroup_processor_mode: 1
amdhsa.target:   amdgcn-amd-amdhsa--gfx1100
amdhsa.version:
  - 1
  - 2
...

	.end_amdgpu_metadata
